;; amdgpu-corpus repo=ROCm/rocFFT kind=compiled arch=gfx1030 opt=O3
	.text
	.amdgcn_target "amdgcn-amd-amdhsa--gfx1030"
	.amdhsa_code_object_version 6
	.protected	fft_rtc_fwd_len1225_factors_5_5_7_7_wgs_175_tpt_175_halfLds_sp_op_CI_CI_unitstride_sbrr_dirReg ; -- Begin function fft_rtc_fwd_len1225_factors_5_5_7_7_wgs_175_tpt_175_halfLds_sp_op_CI_CI_unitstride_sbrr_dirReg
	.globl	fft_rtc_fwd_len1225_factors_5_5_7_7_wgs_175_tpt_175_halfLds_sp_op_CI_CI_unitstride_sbrr_dirReg
	.p2align	8
	.type	fft_rtc_fwd_len1225_factors_5_5_7_7_wgs_175_tpt_175_halfLds_sp_op_CI_CI_unitstride_sbrr_dirReg,@function
fft_rtc_fwd_len1225_factors_5_5_7_7_wgs_175_tpt_175_halfLds_sp_op_CI_CI_unitstride_sbrr_dirReg: ; @fft_rtc_fwd_len1225_factors_5_5_7_7_wgs_175_tpt_175_halfLds_sp_op_CI_CI_unitstride_sbrr_dirReg
; %bb.0:
	s_clause 0x2
	s_load_dwordx4 s[12:15], s[4:5], 0x0
	s_load_dwordx4 s[8:11], s[4:5], 0x58
	;; [unrolled: 1-line block ×3, first 2 shown]
	v_mul_u32_u24_e32 v1, 0x177, v0
	v_mov_b32_e32 v5, 0
	v_mov_b32_e32 v8, 0
	;; [unrolled: 1-line block ×3, first 2 shown]
	v_add_nc_u32_sdwa v10, s6, v1 dst_sel:DWORD dst_unused:UNUSED_PAD src0_sel:DWORD src1_sel:WORD_1
	v_mov_b32_e32 v11, v5
	s_waitcnt lgkmcnt(0)
	v_cmp_lt_u64_e64 s0, s[14:15], 2
	s_and_b32 vcc_lo, exec_lo, s0
	s_cbranch_vccnz .LBB0_8
; %bb.1:
	s_load_dwordx2 s[0:1], s[4:5], 0x10
	v_mov_b32_e32 v8, 0
	v_mov_b32_e32 v9, 0
	s_add_u32 s2, s18, 8
	s_addc_u32 s3, s19, 0
	v_mov_b32_e32 v1, v8
	s_add_u32 s6, s16, 8
	v_mov_b32_e32 v2, v9
	s_addc_u32 s7, s17, 0
	s_mov_b64 s[22:23], 1
	s_waitcnt lgkmcnt(0)
	s_add_u32 s20, s0, 8
	s_addc_u32 s21, s1, 0
.LBB0_2:                                ; =>This Inner Loop Header: Depth=1
	s_load_dwordx2 s[24:25], s[20:21], 0x0
                                        ; implicit-def: $vgpr3_vgpr4
	s_mov_b32 s0, exec_lo
	s_waitcnt lgkmcnt(0)
	v_or_b32_e32 v6, s25, v11
	v_cmpx_ne_u64_e32 0, v[5:6]
	s_xor_b32 s1, exec_lo, s0
	s_cbranch_execz .LBB0_4
; %bb.3:                                ;   in Loop: Header=BB0_2 Depth=1
	v_cvt_f32_u32_e32 v3, s24
	v_cvt_f32_u32_e32 v4, s25
	s_sub_u32 s0, 0, s24
	s_subb_u32 s26, 0, s25
	v_fmac_f32_e32 v3, 0x4f800000, v4
	v_rcp_f32_e32 v3, v3
	v_mul_f32_e32 v3, 0x5f7ffffc, v3
	v_mul_f32_e32 v4, 0x2f800000, v3
	v_trunc_f32_e32 v4, v4
	v_fmac_f32_e32 v3, 0xcf800000, v4
	v_cvt_u32_f32_e32 v4, v4
	v_cvt_u32_f32_e32 v3, v3
	v_mul_lo_u32 v6, s0, v4
	v_mul_hi_u32 v7, s0, v3
	v_mul_lo_u32 v12, s26, v3
	v_add_nc_u32_e32 v6, v7, v6
	v_mul_lo_u32 v7, s0, v3
	v_add_nc_u32_e32 v6, v6, v12
	v_mul_hi_u32 v12, v3, v7
	v_mul_lo_u32 v13, v3, v6
	v_mul_hi_u32 v14, v3, v6
	v_mul_hi_u32 v15, v4, v7
	v_mul_lo_u32 v7, v4, v7
	v_mul_hi_u32 v16, v4, v6
	v_mul_lo_u32 v6, v4, v6
	v_add_co_u32 v12, vcc_lo, v12, v13
	v_add_co_ci_u32_e32 v13, vcc_lo, 0, v14, vcc_lo
	v_add_co_u32 v7, vcc_lo, v12, v7
	v_add_co_ci_u32_e32 v7, vcc_lo, v13, v15, vcc_lo
	v_add_co_ci_u32_e32 v12, vcc_lo, 0, v16, vcc_lo
	v_add_co_u32 v6, vcc_lo, v7, v6
	v_add_co_ci_u32_e32 v7, vcc_lo, 0, v12, vcc_lo
	v_add_co_u32 v3, vcc_lo, v3, v6
	v_add_co_ci_u32_e32 v4, vcc_lo, v4, v7, vcc_lo
	v_mul_hi_u32 v6, s0, v3
	v_mul_lo_u32 v12, s26, v3
	v_mul_lo_u32 v7, s0, v4
	v_add_nc_u32_e32 v6, v6, v7
	v_mul_lo_u32 v7, s0, v3
	v_add_nc_u32_e32 v6, v6, v12
	v_mul_hi_u32 v12, v3, v7
	v_mul_lo_u32 v13, v3, v6
	v_mul_hi_u32 v14, v3, v6
	v_mul_hi_u32 v15, v4, v7
	v_mul_lo_u32 v7, v4, v7
	v_mul_hi_u32 v16, v4, v6
	v_mul_lo_u32 v6, v4, v6
	v_add_co_u32 v12, vcc_lo, v12, v13
	v_add_co_ci_u32_e32 v13, vcc_lo, 0, v14, vcc_lo
	v_add_co_u32 v7, vcc_lo, v12, v7
	v_add_co_ci_u32_e32 v7, vcc_lo, v13, v15, vcc_lo
	v_add_co_ci_u32_e32 v12, vcc_lo, 0, v16, vcc_lo
	v_add_co_u32 v6, vcc_lo, v7, v6
	v_add_co_ci_u32_e32 v7, vcc_lo, 0, v12, vcc_lo
	v_add_co_u32 v6, vcc_lo, v3, v6
	v_add_co_ci_u32_e32 v12, vcc_lo, v4, v7, vcc_lo
	v_mul_hi_u32 v14, v10, v6
	v_mad_u64_u32 v[6:7], null, v11, v6, 0
	v_mad_u64_u32 v[3:4], null, v10, v12, 0
	;; [unrolled: 1-line block ×3, first 2 shown]
	v_add_co_u32 v3, vcc_lo, v14, v3
	v_add_co_ci_u32_e32 v4, vcc_lo, 0, v4, vcc_lo
	v_add_co_u32 v3, vcc_lo, v3, v6
	v_add_co_ci_u32_e32 v3, vcc_lo, v4, v7, vcc_lo
	v_add_co_ci_u32_e32 v4, vcc_lo, 0, v13, vcc_lo
	v_add_co_u32 v6, vcc_lo, v3, v12
	v_add_co_ci_u32_e32 v7, vcc_lo, 0, v4, vcc_lo
	v_mul_lo_u32 v12, s25, v6
	v_mad_u64_u32 v[3:4], null, s24, v6, 0
	v_mul_lo_u32 v13, s24, v7
	v_sub_co_u32 v3, vcc_lo, v10, v3
	v_add3_u32 v4, v4, v13, v12
	v_sub_nc_u32_e32 v12, v11, v4
	v_subrev_co_ci_u32_e64 v12, s0, s25, v12, vcc_lo
	v_add_co_u32 v13, s0, v6, 2
	v_add_co_ci_u32_e64 v14, s0, 0, v7, s0
	v_sub_co_u32 v15, s0, v3, s24
	v_sub_co_ci_u32_e32 v4, vcc_lo, v11, v4, vcc_lo
	v_subrev_co_ci_u32_e64 v12, s0, 0, v12, s0
	v_cmp_le_u32_e32 vcc_lo, s24, v15
	v_cmp_eq_u32_e64 s0, s25, v4
	v_cndmask_b32_e64 v15, 0, -1, vcc_lo
	v_cmp_le_u32_e32 vcc_lo, s25, v12
	v_cndmask_b32_e64 v16, 0, -1, vcc_lo
	v_cmp_le_u32_e32 vcc_lo, s24, v3
	;; [unrolled: 2-line block ×3, first 2 shown]
	v_cndmask_b32_e64 v17, 0, -1, vcc_lo
	v_cmp_eq_u32_e32 vcc_lo, s25, v12
	v_cndmask_b32_e64 v3, v17, v3, s0
	v_cndmask_b32_e32 v12, v16, v15, vcc_lo
	v_add_co_u32 v15, vcc_lo, v6, 1
	v_add_co_ci_u32_e32 v16, vcc_lo, 0, v7, vcc_lo
	v_cmp_ne_u32_e32 vcc_lo, 0, v12
	v_cndmask_b32_e32 v4, v16, v14, vcc_lo
	v_cndmask_b32_e32 v12, v15, v13, vcc_lo
	v_cmp_ne_u32_e32 vcc_lo, 0, v3
	v_cndmask_b32_e32 v4, v7, v4, vcc_lo
	v_cndmask_b32_e32 v3, v6, v12, vcc_lo
.LBB0_4:                                ;   in Loop: Header=BB0_2 Depth=1
	s_andn2_saveexec_b32 s0, s1
	s_cbranch_execz .LBB0_6
; %bb.5:                                ;   in Loop: Header=BB0_2 Depth=1
	v_cvt_f32_u32_e32 v3, s24
	s_sub_i32 s1, 0, s24
	v_rcp_iflag_f32_e32 v3, v3
	v_mul_f32_e32 v3, 0x4f7ffffe, v3
	v_cvt_u32_f32_e32 v3, v3
	v_mul_lo_u32 v4, s1, v3
	v_mul_hi_u32 v4, v3, v4
	v_add_nc_u32_e32 v3, v3, v4
	v_mul_hi_u32 v3, v10, v3
	v_mul_lo_u32 v4, v3, s24
	v_add_nc_u32_e32 v6, 1, v3
	v_sub_nc_u32_e32 v4, v10, v4
	v_subrev_nc_u32_e32 v7, s24, v4
	v_cmp_le_u32_e32 vcc_lo, s24, v4
	v_cndmask_b32_e32 v4, v4, v7, vcc_lo
	v_cndmask_b32_e32 v3, v3, v6, vcc_lo
	v_cmp_le_u32_e32 vcc_lo, s24, v4
	v_add_nc_u32_e32 v6, 1, v3
	v_mov_b32_e32 v4, v5
	v_cndmask_b32_e32 v3, v3, v6, vcc_lo
.LBB0_6:                                ;   in Loop: Header=BB0_2 Depth=1
	s_or_b32 exec_lo, exec_lo, s0
	v_mul_lo_u32 v12, v4, s24
	v_mul_lo_u32 v13, v3, s25
	s_load_dwordx2 s[0:1], s[6:7], 0x0
	v_mad_u64_u32 v[6:7], null, v3, s24, 0
	s_load_dwordx2 s[24:25], s[2:3], 0x0
	s_add_u32 s22, s22, 1
	s_addc_u32 s23, s23, 0
	s_add_u32 s2, s2, 8
	s_addc_u32 s3, s3, 0
	s_add_u32 s6, s6, 8
	v_add3_u32 v7, v7, v13, v12
	v_sub_co_u32 v6, vcc_lo, v10, v6
	s_addc_u32 s7, s7, 0
	s_add_u32 s20, s20, 8
	v_sub_co_ci_u32_e32 v7, vcc_lo, v11, v7, vcc_lo
	s_addc_u32 s21, s21, 0
	s_waitcnt lgkmcnt(0)
	v_mul_lo_u32 v10, s0, v7
	v_mul_lo_u32 v11, s1, v6
	v_mad_u64_u32 v[8:9], null, s0, v6, v[8:9]
	v_mul_lo_u32 v7, s24, v7
	v_mul_lo_u32 v12, s25, v6
	v_mad_u64_u32 v[1:2], null, s24, v6, v[1:2]
	v_cmp_ge_u64_e64 s0, s[22:23], s[14:15]
	v_add3_u32 v9, v11, v9, v10
	v_add3_u32 v2, v12, v2, v7
	s_and_b32 vcc_lo, exec_lo, s0
	s_cbranch_vccnz .LBB0_9
; %bb.7:                                ;   in Loop: Header=BB0_2 Depth=1
	v_mov_b32_e32 v11, v4
	v_mov_b32_e32 v10, v3
	s_branch .LBB0_2
.LBB0_8:
	v_mov_b32_e32 v1, v8
	v_mov_b32_e32 v3, v10
	;; [unrolled: 1-line block ×4, first 2 shown]
.LBB0_9:
	s_load_dwordx2 s[0:1], s[4:5], 0x28
	v_mul_hi_u32 v6, 0x1767dcf, v0
	s_lshl_b64 s[4:5], s[14:15], 3
                                        ; implicit-def: $sgpr6
                                        ; implicit-def: $vgpr36
	s_add_u32 s2, s18, s4
	s_addc_u32 s3, s19, s5
	s_waitcnt lgkmcnt(0)
	v_cmp_gt_u64_e32 vcc_lo, s[0:1], v[3:4]
	v_cmp_le_u64_e64 s0, s[0:1], v[3:4]
	s_and_saveexec_b32 s1, s0
	s_xor_b32 s0, exec_lo, s1
; %bb.10:
	v_mul_u32_u24_e32 v5, 0xaf, v6
	s_mov_b32 s6, 0
                                        ; implicit-def: $vgpr6
                                        ; implicit-def: $vgpr8_vgpr9
	v_sub_nc_u32_e32 v36, v0, v5
                                        ; implicit-def: $vgpr0
; %bb.11:
	s_or_saveexec_b32 s1, s0
	s_load_dwordx2 s[2:3], s[2:3], 0x0
	v_mov_b32_e32 v5, s6
                                        ; implicit-def: $vgpr13
                                        ; implicit-def: $vgpr27
                                        ; implicit-def: $vgpr29
                                        ; implicit-def: $vgpr31
                                        ; implicit-def: $vgpr19
                                        ; implicit-def: $vgpr25
                                        ; implicit-def: $vgpr23
                                        ; implicit-def: $vgpr21
                                        ; implicit-def: $vgpr7
                                        ; implicit-def: $vgpr33
	s_xor_b32 exec_lo, exec_lo, s1
	s_cbranch_execz .LBB0_15
; %bb.12:
	s_add_u32 s4, s16, s4
	s_addc_u32 s5, s17, s5
	v_mul_u32_u24_e32 v12, 0xaf, v6
	s_load_dwordx2 s[4:5], s[4:5], 0x0
                                        ; implicit-def: $vgpr20
                                        ; implicit-def: $vgpr22
                                        ; implicit-def: $vgpr24
                                        ; implicit-def: $vgpr18
	v_sub_nc_u32_e32 v36, v0, v12
	s_waitcnt lgkmcnt(0)
	v_mul_lo_u32 v5, s5, v3
	v_mul_lo_u32 v7, s4, v4
	v_mad_u64_u32 v[10:11], null, s4, v3, 0
	s_mov_b32 s4, exec_lo
	v_add3_u32 v11, v11, v7, v5
	v_lshlrev_b64 v[7:8], 3, v[8:9]
	v_lshlrev_b64 v[5:6], 3, v[10:11]
	v_add_co_u32 v0, s0, s8, v5
	v_add_co_ci_u32_e64 v5, s0, s9, v6, s0
	v_lshlrev_b32_e32 v6, 3, v36
	v_add_co_u32 v0, s0, v0, v7
	v_add_co_ci_u32_e64 v5, s0, v5, v8, s0
	v_add_co_u32 v7, s0, v0, v6
	v_add_co_ci_u32_e64 v8, s0, 0, v5, s0
                                        ; implicit-def: $vgpr6
	v_add_co_u32 v9, s0, 0x800, v7
	v_add_co_ci_u32_e64 v10, s0, 0, v8, s0
	v_add_co_u32 v14, s0, 0x1000, v7
	v_add_co_ci_u32_e64 v15, s0, 0, v8, s0
	;; [unrolled: 2-line block ×3, first 2 shown]
	s_clause 0x4
	global_load_dwordx2 v[12:13], v[7:8], off
	global_load_dwordx2 v[26:27], v[7:8], off offset:1960
	global_load_dwordx2 v[28:29], v[9:10], off offset:1872
	;; [unrolled: 1-line block ×4, first 2 shown]
	v_cmpx_gt_u32_e32 0x46, v36
; %bb.13:
	v_add_co_u32 v18, s0, 0x2000, v7
	v_add_co_ci_u32_e64 v19, s0, 0, v8, s0
	s_clause 0x4
	global_load_dwordx2 v[6:7], v[7:8], off offset:1400
	global_load_dwordx2 v[20:21], v[9:10], off offset:1312
	;; [unrolled: 1-line block ×5, first 2 shown]
; %bb.14:
	s_or_b32 exec_lo, exec_lo, s4
	v_mov_b32_e32 v5, v36
.LBB0_15:
	s_or_b32 exec_lo, exec_lo, s1
	s_waitcnt vmcnt(1)
	v_add_f32_e32 v0, v32, v28
	s_waitcnt vmcnt(0)
	v_sub_f32_e32 v9, v27, v31
	v_sub_f32_e32 v10, v29, v33
	;; [unrolled: 1-line block ×4, first 2 shown]
	v_fma_f32 v0, -0.5, v0, v12
	v_add_f32_e32 v15, v26, v30
	v_add_f32_e32 v8, v12, v26
	v_sub_f32_e32 v17, v28, v26
	v_add_f32_e32 v11, v11, v14
	v_fmamk_f32 v16, v9, 0x3f737871, v0
	v_fmac_f32_e32 v0, 0xbf737871, v9
	v_fmac_f32_e32 v12, -0.5, v15
	v_add_f32_e32 v14, v20, v6
	v_sub_f32_e32 v34, v32, v30
	v_fmac_f32_e32 v16, 0x3f167918, v10
	v_fmac_f32_e32 v0, 0xbf167918, v10
	v_fmamk_f32 v15, v10, 0xbf737871, v12
	v_fmac_f32_e32 v12, 0x3f737871, v10
	v_add_f32_e32 v10, v22, v14
	v_fmac_f32_e32 v16, 0x3e9e377a, v11
	v_fmac_f32_e32 v0, 0x3e9e377a, v11
	v_add_f32_e32 v11, v24, v22
	v_add_f32_e32 v14, v17, v34
	v_add_f32_e32 v17, v18, v20
	v_sub_f32_e32 v35, v21, v19
	v_fmac_f32_e32 v15, 0x3f167918, v9
	v_fma_f32 v37, -0.5, v11, v6
	v_fmac_f32_e32 v12, 0xbf167918, v9
	v_add_f32_e32 v9, v24, v10
	v_sub_f32_e32 v34, v23, v25
	v_fmac_f32_e32 v6, -0.5, v17
	v_add_f32_e32 v8, v8, v28
	v_fmamk_f32 v11, v35, 0x3f737871, v37
	v_fmac_f32_e32 v15, 0x3e9e377a, v14
	v_fmac_f32_e32 v12, 0x3e9e377a, v14
	v_add_f32_e32 v10, v18, v9
	v_sub_f32_e32 v9, v20, v22
	v_sub_f32_e32 v17, v18, v24
	v_fmac_f32_e32 v37, 0xbf737871, v35
	v_fmamk_f32 v14, v34, 0xbf737871, v6
	v_sub_f32_e32 v38, v22, v20
	v_sub_f32_e32 v39, v24, v18
	v_fmac_f32_e32 v6, 0x3f737871, v34
	v_add_f32_e32 v8, v8, v32
	v_fmac_f32_e32 v11, 0x3f167918, v34
	v_add_f32_e32 v9, v17, v9
	v_fmac_f32_e32 v37, 0xbf167918, v34
	v_fmac_f32_e32 v14, 0x3f167918, v35
	v_add_f32_e32 v17, v39, v38
	v_fmac_f32_e32 v6, 0xbf167918, v35
	v_mad_u32_u24 v39, v36, 20, 0
	v_add_f32_e32 v8, v8, v30
	v_fmac_f32_e32 v11, 0x3e9e377a, v9
	v_fmac_f32_e32 v37, 0x3e9e377a, v9
	;; [unrolled: 1-line block ×4, first 2 shown]
	v_cmp_gt_u32_e64 s0, 0x46, v36
	v_add_nc_u32_e32 v40, 0xdac, v39
	v_add_nc_u32_e32 v41, 0xdb4, v39
	ds_write2_b32 v39, v8, v16 offset1:1
	ds_write2_b32 v39, v15, v12 offset0:2 offset1:3
	ds_write_b32 v39, v0 offset:16
	s_and_saveexec_b32 s1, s0
	s_cbranch_execz .LBB0_17
; %bb.16:
	ds_write2_b32 v40, v10, v11 offset1:1
	ds_write2_b32 v41, v14, v6 offset1:1
	ds_write_b32 v39, v37 offset:3516
.LBB0_17:
	s_or_b32 exec_lo, exec_lo, s1
	v_lshlrev_b32_e32 v0, 4, v36
	s_waitcnt lgkmcnt(0)
	s_barrier
	buffer_gl0_inv
	v_sub_nc_u32_e32 v8, v39, v0
	v_sub_nc_u32_e32 v0, 0, v0
	v_add_nc_u32_e32 v9, 0x780, v8
	v_add_nc_u32_e32 v0, v39, v0
	ds_read2_b32 v[16:17], v8 offset1:245
	ds_read2_b32 v[34:35], v9 offset0:10 offset1:255
	ds_read_b32 v38, v8 offset:3920
	s_and_saveexec_b32 s1, s0
	s_cbranch_execz .LBB0_19
; %bb.18:
	v_add_nc_u32_e32 v6, 0xa40, v0
	v_add_nc_u32_e32 v8, 0x2a0, v0
	ds_read2_b32 v[14:15], v6 offset0:9 offset1:254
	ds_read2_b32 v[10:11], v8 offset0:7 offset1:252
	ds_read_b32 v37, v0 offset:4620
	s_waitcnt lgkmcnt(2)
	v_mov_b32_e32 v6, v15
.LBB0_19:
	s_or_b32 exec_lo, exec_lo, s1
	v_add_f32_e32 v8, v33, v29
	v_add_f32_e32 v9, v13, v27
	v_sub_f32_e32 v12, v26, v30
	v_sub_f32_e32 v15, v28, v32
	v_add_f32_e32 v30, v27, v31
	v_fma_f32 v28, -0.5, v8, v13
	v_sub_f32_e32 v8, v27, v29
	v_sub_f32_e32 v26, v31, v33
	v_add_f32_e32 v9, v9, v29
	v_fmac_f32_e32 v13, -0.5, v30
	v_fmamk_f32 v32, v12, 0xbf737871, v28
	v_fmac_f32_e32 v28, 0x3f737871, v12
	v_add_f32_e32 v8, v8, v26
	v_add_f32_e32 v9, v9, v33
	v_fmamk_f32 v30, v15, 0x3f737871, v13
	v_fmac_f32_e32 v32, 0xbf167918, v15
	v_fmac_f32_e32 v28, 0x3f167918, v15
	;; [unrolled: 1-line block ×3, first 2 shown]
	v_add_f32_e32 v15, v21, v7
	v_add_f32_e32 v26, v25, v23
	v_add_f32_e32 v42, v9, v31
	v_fmac_f32_e32 v32, 0x3e9e377a, v8
	v_fmac_f32_e32 v28, 0x3e9e377a, v8
	v_sub_f32_e32 v8, v29, v27
	v_sub_f32_e32 v9, v33, v31
	v_fmac_f32_e32 v30, 0xbf167918, v12
	v_fmac_f32_e32 v13, 0x3f167918, v12
	v_add_f32_e32 v12, v23, v15
	v_add_f32_e32 v15, v19, v21
	v_fma_f32 v26, -0.5, v26, v7
	v_sub_f32_e32 v20, v20, v18
	v_add_f32_e32 v8, v8, v9
	v_sub_f32_e32 v22, v22, v24
	v_fmac_f32_e32 v7, -0.5, v15
	v_sub_f32_e32 v15, v19, v25
	v_fmamk_f32 v9, v20, 0xbf737871, v26
	v_fmac_f32_e32 v30, 0x3e9e377a, v8
	v_fmac_f32_e32 v13, 0x3e9e377a, v8
	v_add_f32_e32 v8, v25, v12
	v_sub_f32_e32 v12, v21, v23
	v_fmac_f32_e32 v26, 0x3f737871, v20
	v_fmamk_f32 v18, v22, 0x3f737871, v7
	v_sub_f32_e32 v21, v23, v21
	v_sub_f32_e32 v23, v25, v19
	v_fmac_f32_e32 v7, 0xbf737871, v22
	v_fmac_f32_e32 v9, 0xbf167918, v22
	v_add_f32_e32 v12, v15, v12
	v_fmac_f32_e32 v26, 0x3f167918, v22
	v_fmac_f32_e32 v18, 0xbf167918, v20
	v_add_f32_e32 v15, v23, v21
	v_fmac_f32_e32 v7, 0x3f167918, v20
	v_add_f32_e32 v8, v19, v8
	v_fmac_f32_e32 v9, 0x3e9e377a, v12
	v_fmac_f32_e32 v26, 0x3e9e377a, v12
	;; [unrolled: 1-line block ×4, first 2 shown]
	s_waitcnt lgkmcnt(0)
	s_barrier
	buffer_gl0_inv
	ds_write2_b32 v39, v42, v32 offset1:1
	ds_write2_b32 v39, v30, v13 offset0:2 offset1:3
	ds_write_b32 v39, v28 offset:16
	s_and_saveexec_b32 s1, s0
	s_cbranch_execz .LBB0_21
; %bb.20:
	ds_write2_b32 v40, v8, v9 offset1:1
	ds_write2_b32 v41, v18, v7 offset1:1
	ds_write_b32 v39, v26 offset:3516
.LBB0_21:
	s_or_b32 exec_lo, exec_lo, s1
	v_add_nc_u32_e32 v15, 0x780, v0
	s_waitcnt lgkmcnt(0)
	s_barrier
	buffer_gl0_inv
	ds_read2_b32 v[12:13], v0 offset1:245
	ds_read2_b32 v[20:21], v15 offset0:10 offset1:255
	ds_read_b32 v28, v0 offset:3920
	s_and_saveexec_b32 s1, s0
	s_cbranch_execz .LBB0_23
; %bb.22:
	v_add_nc_u32_e32 v7, 0xa40, v0
	v_add_nc_u32_e32 v8, 0x2a0, v0
	ds_read2_b32 v[18:19], v7 offset0:9 offset1:254
	ds_read2_b32 v[8:9], v8 offset0:7 offset1:252
	ds_read_b32 v26, v0 offset:4620
	s_waitcnt lgkmcnt(2)
	v_mov_b32_e32 v7, v19
.LBB0_23:
	s_or_b32 exec_lo, exec_lo, s1
	v_and_b32_e32 v15, 0xff, v36
	v_add_nc_u32_e32 v22, 0xaf, v36
	v_mov_b32_e32 v23, 0xcccd
	v_mov_b32_e32 v25, 5
	;; [unrolled: 1-line block ×3, first 2 shown]
	v_mul_lo_u16 v19, 0xcd, v15
	v_mov_b32_e32 v41, 2
	v_lshrrev_b16 v24, 10, v19
	v_mul_u32_u24_sdwa v19, v22, v23 dst_sel:DWORD dst_unused:UNUSED_PAD src0_sel:WORD_0 src1_sel:DWORD
	v_mul_lo_u16 v23, v24, 5
	v_lshrrev_b32_e32 v19, 18, v19
	v_mul_u32_u24_sdwa v24, v24, v40 dst_sel:DWORD dst_unused:UNUSED_PAD src0_sel:WORD_0 src1_sel:DWORD
	v_sub_nc_u16 v23, v36, v23
	v_mul_lo_u16 v19, v19, 5
	v_lshlrev_b32_sdwa v27, v25, v23 dst_sel:DWORD dst_unused:UNUSED_PAD src0_sel:DWORD src1_sel:BYTE_0
	v_sub_nc_u16 v19, v22, v19
	v_lshlrev_b32_sdwa v23, v41, v23 dst_sel:DWORD dst_unused:UNUSED_PAD src0_sel:DWORD src1_sel:BYTE_0
	v_and_b32_e32 v22, 0xff, v22
	global_load_dwordx4 v[42:45], v27, s[12:13]
	v_lshlrev_b32_sdwa v25, v25, v19 dst_sel:DWORD dst_unused:UNUSED_PAD src0_sel:DWORD src1_sel:WORD_0
	s_clause 0x2
	global_load_dwordx4 v[46:49], v27, s[12:13] offset:16
	global_load_dwordx4 v[50:53], v25, s[12:13]
	global_load_dwordx4 v[54:57], v25, s[12:13] offset:16
	v_add3_u32 v27, 0, v24, v23
	s_waitcnt vmcnt(0) lgkmcnt(0)
	s_barrier
	buffer_gl0_inv
	v_mul_f32_e32 v29, v13, v43
	v_mul_f32_e32 v32, v17, v43
	;; [unrolled: 1-line block ×8, first 2 shown]
	v_fmac_f32_e32 v32, v13, v42
	v_fma_f32 v13, v34, v44, -v31
	v_fma_f32 v34, v35, v46, -v43
	v_mul_f32_e32 v39, v35, v47
	v_mul_f32_e32 v24, v14, v53
	v_fma_f32 v17, v17, v42, -v29
	v_fma_f32 v35, v38, v48, -v45
	v_mul_f32_e32 v47, v9, v51
	v_mul_f32_e32 v23, v11, v51
	;; [unrolled: 1-line block ×5, first 2 shown]
	v_fmac_f32_e32 v30, v28, v48
	v_fmac_f32_e32 v25, v7, v54
	v_add_f32_e32 v7, v13, v34
	v_fmac_f32_e32 v33, v20, v44
	v_fmac_f32_e32 v39, v21, v46
	;; [unrolled: 1-line block ×3, first 2 shown]
	v_add_f32_e32 v18, v17, v35
	v_mul_f32_e32 v20, v37, v57
	v_fmac_f32_e32 v23, v9, v50
	v_fma_f32 v28, v14, v52, -v49
	v_fma_f32 v29, v6, v54, -v51
	;; [unrolled: 1-line block ×3, first 2 shown]
	v_add_f32_e32 v6, v16, v17
	v_sub_f32_e32 v9, v32, v30
	v_sub_f32_e32 v14, v17, v13
	;; [unrolled: 1-line block ×3, first 2 shown]
	v_fma_f32 v7, -0.5, v7, v16
	v_fma_f32 v21, v11, v50, -v47
	v_sub_f32_e32 v11, v33, v39
	v_sub_f32_e32 v38, v13, v17
	;; [unrolled: 1-line block ×3, first 2 shown]
	v_fmac_f32_e32 v16, -0.5, v18
	v_add_f32_e32 v6, v6, v13
	v_add_f32_e32 v14, v14, v37
	v_fmamk_f32 v37, v9, 0x3f737871, v7
	v_add_f32_e32 v18, v38, v42
	v_fmamk_f32 v38, v11, 0xbf737871, v16
	v_fmac_f32_e32 v16, 0x3f737871, v11
	v_fmac_f32_e32 v7, 0xbf737871, v9
	v_add_f32_e32 v6, v6, v34
	v_fmac_f32_e32 v37, 0x3f167918, v11
	v_fmac_f32_e32 v38, 0x3f167918, v9
	;; [unrolled: 1-line block ×4, first 2 shown]
	v_add_f32_e32 v6, v6, v35
	v_fmac_f32_e32 v37, 0x3e9e377a, v14
	v_fmac_f32_e32 v20, v26, v56
	;; [unrolled: 1-line block ×5, first 2 shown]
	ds_write2_b32 v27, v6, v37 offset1:5
	ds_write2_b32 v27, v38, v16 offset0:10 offset1:15
	ds_write_b32 v27, v7 offset:80
	s_and_saveexec_b32 s1, s0
	s_cbranch_execz .LBB0_25
; %bb.24:
	v_add_f32_e32 v6, v21, v31
	v_add_f32_e32 v16, v28, v29
	v_sub_f32_e32 v7, v28, v21
	v_sub_f32_e32 v9, v29, v31
	;; [unrolled: 1-line block ×3, first 2 shown]
	v_fma_f32 v6, -0.5, v6, v10
	v_add_f32_e32 v37, v10, v21
	v_fma_f32 v10, -0.5, v16, v10
	v_mul_lo_u16 v16, 0xcd, v22
	v_sub_f32_e32 v11, v24, v25
	v_sub_f32_e32 v18, v21, v28
	;; [unrolled: 1-line block ×3, first 2 shown]
	v_add_f32_e32 v7, v7, v9
	v_add_f32_e32 v9, v37, v28
	v_fmamk_f32 v37, v14, 0xbf737871, v10
	v_fmac_f32_e32 v10, 0x3f737871, v14
	v_lshrrev_b16 v16, 10, v16
	v_fmamk_f32 v38, v11, 0x3f737871, v6
	v_fmac_f32_e32 v6, 0xbf737871, v11
	v_add_f32_e32 v18, v18, v26
	v_fmac_f32_e32 v10, 0x3f167918, v11
	v_add_f32_e32 v9, v9, v29
	v_mul_u32_u24_sdwa v16, v16, v40 dst_sel:DWORD dst_unused:UNUSED_PAD src0_sel:WORD_0 src1_sel:DWORD
	v_lshlrev_b32_sdwa v26, v41, v19 dst_sel:DWORD dst_unused:UNUSED_PAD src0_sel:DWORD src1_sel:WORD_0
	v_fmac_f32_e32 v38, 0xbf167918, v14
	v_fmac_f32_e32 v6, 0x3f167918, v14
	v_fmac_f32_e32 v37, 0xbf167918, v11
	v_fmac_f32_e32 v10, 0x3e9e377a, v18
	v_add_f32_e32 v9, v9, v31
	v_add3_u32 v11, 0, v16, v26
	v_fmac_f32_e32 v38, 0x3e9e377a, v7
	v_fmac_f32_e32 v6, 0x3e9e377a, v7
	;; [unrolled: 1-line block ×3, first 2 shown]
	ds_write2_b32 v11, v9, v10 offset1:5
	ds_write2_b32 v11, v6, v38 offset0:10 offset1:15
	ds_write_b32 v11, v37 offset:80
.LBB0_25:
	s_or_b32 exec_lo, exec_lo, s1
	v_add_f32_e32 v6, v33, v39
	v_add_f32_e32 v7, v12, v32
	v_sub_f32_e32 v26, v17, v35
	v_add_f32_e32 v9, v32, v30
	v_lshl_add_u32 v11, v36, 2, 0
	v_fma_f32 v35, -0.5, v6, v12
	v_add_f32_e32 v6, v7, v33
	v_sub_f32_e32 v34, v13, v34
	v_add_nc_u32_e32 v13, 0x500, v0
	v_add_nc_u32_e32 v14, 0xa00, v0
	v_fmac_f32_e32 v12, -0.5, v9
	s_waitcnt lgkmcnt(0)
	v_add_f32_e32 v41, v6, v39
	s_barrier
	buffer_gl0_inv
	ds_read_b32 v17, v0 offset:4200
	ds_read_b32 v16, v0
	ds_read_b32 v18, v11 offset:700
	ds_read2_b32 v[9:10], v13 offset0:30 offset1:205
	ds_read2_b32 v[6:7], v14 offset0:60 offset1:235
	v_sub_f32_e32 v37, v32, v33
	v_sub_f32_e32 v38, v30, v39
	v_fmamk_f32 v40, v26, 0xbf737871, v35
	v_fmamk_f32 v42, v34, 0x3f737871, v12
	v_sub_f32_e32 v32, v33, v32
	v_sub_f32_e32 v33, v39, v30
	v_fmac_f32_e32 v12, 0xbf737871, v34
	v_fmac_f32_e32 v35, 0x3f737871, v26
	;; [unrolled: 1-line block ×3, first 2 shown]
	v_add_f32_e32 v37, v37, v38
	v_fmac_f32_e32 v42, 0xbf167918, v26
	v_add_f32_e32 v32, v32, v33
	v_fmac_f32_e32 v12, 0x3f167918, v26
	v_fmac_f32_e32 v35, 0x3f167918, v34
	v_add_f32_e32 v26, v41, v30
	v_fmac_f32_e32 v40, 0x3e9e377a, v37
	v_fmac_f32_e32 v42, 0x3e9e377a, v32
	;; [unrolled: 1-line block ×4, first 2 shown]
	s_waitcnt lgkmcnt(0)
	s_barrier
	buffer_gl0_inv
	ds_write2_b32 v27, v26, v40 offset1:5
	ds_write2_b32 v27, v42, v12 offset0:10 offset1:15
	ds_write_b32 v27, v35 offset:80
	s_and_saveexec_b32 s1, s0
	s_cbranch_execz .LBB0_27
; %bb.26:
	v_add_f32_e32 v12, v8, v23
	v_add_f32_e32 v26, v24, v25
	v_sub_f32_e32 v27, v28, v29
	v_add_f32_e32 v29, v23, v20
	v_sub_f32_e32 v21, v21, v31
	v_add_f32_e32 v12, v12, v24
	v_fma_f32 v26, -0.5, v26, v8
	v_mul_lo_u16 v22, 0xcd, v22
	v_fmac_f32_e32 v8, -0.5, v29
	v_sub_f32_e32 v28, v23, v24
	v_add_f32_e32 v12, v12, v25
	v_sub_f32_e32 v30, v20, v25
	v_fmamk_f32 v31, v21, 0xbf737871, v26
	v_sub_f32_e32 v23, v24, v23
	v_lshrrev_b16 v22, 10, v22
	v_add_f32_e32 v12, v12, v20
	v_sub_f32_e32 v20, v25, v20
	v_mov_b32_e32 v24, 0x64
	v_mov_b32_e32 v25, 2
	v_fmamk_f32 v29, v27, 0x3f737871, v8
	v_fmac_f32_e32 v8, 0xbf737871, v27
	v_fmac_f32_e32 v26, 0x3f737871, v21
	v_add_f32_e32 v28, v28, v30
	v_fmac_f32_e32 v31, 0xbf167918, v27
	v_mul_u32_u24_sdwa v22, v22, v24 dst_sel:DWORD dst_unused:UNUSED_PAD src0_sel:WORD_0 src1_sel:DWORD
	v_lshlrev_b32_sdwa v19, v25, v19 dst_sel:DWORD dst_unused:UNUSED_PAD src0_sel:DWORD src1_sel:WORD_0
	v_fmac_f32_e32 v29, 0xbf167918, v21
	v_add_f32_e32 v20, v23, v20
	v_fmac_f32_e32 v8, 0x3f167918, v21
	v_fmac_f32_e32 v26, 0x3f167918, v27
	;; [unrolled: 1-line block ×3, first 2 shown]
	v_add3_u32 v19, 0, v22, v19
	v_fmac_f32_e32 v29, 0x3e9e377a, v20
	v_fmac_f32_e32 v8, 0x3e9e377a, v20
	v_fmac_f32_e32 v26, 0x3e9e377a, v28
	ds_write2_b32 v19, v12, v31 offset1:5
	ds_write2_b32 v19, v29, v8 offset0:10 offset1:15
	ds_write_b32 v19, v26 offset:80
.LBB0_27:
	s_or_b32 exec_lo, exec_lo, s1
	v_mul_lo_u16 v8, v15, 41
	v_mov_b32_e32 v15, 6
	s_waitcnt lgkmcnt(0)
	s_barrier
	buffer_gl0_inv
	v_lshrrev_b16 v8, 10, v8
	v_mov_b32_e32 v35, 0x2bc
	v_mov_b32_e32 v37, 2
	v_mul_lo_u16 v12, v8, 25
	v_mul_u32_u24_sdwa v8, v8, v35 dst_sel:DWORD dst_unused:UNUSED_PAD src0_sel:WORD_0 src1_sel:DWORD
	v_sub_nc_u16 v12, v36, v12
	v_mul_u32_u24_sdwa v15, v12, v15 dst_sel:DWORD dst_unused:UNUSED_PAD src0_sel:BYTE_0 src1_sel:DWORD
	v_lshlrev_b32_sdwa v12, v37, v12 dst_sel:DWORD dst_unused:UNUSED_PAD src0_sel:DWORD src1_sel:BYTE_0
	v_lshlrev_b32_e32 v15, 3, v15
	v_add3_u32 v37, 0, v8, v12
	s_clause 0x2
	global_load_dwordx4 v[19:22], v15, s[12:13] offset:160
	global_load_dwordx4 v[23:26], v15, s[12:13] offset:176
	;; [unrolled: 1-line block ×3, first 2 shown]
	ds_read_b32 v15, v11 offset:700
	ds_read2_b32 v[31:32], v13 offset0:30 offset1:205
	ds_read2_b32 v[33:34], v14 offset0:60 offset1:235
	ds_read_b32 v38, v0 offset:4200
	ds_read_b32 v35, v0
	s_waitcnt vmcnt(0) lgkmcnt(0)
	s_barrier
	buffer_gl0_inv
	v_mul_f32_e32 v8, v15, v20
	v_mul_f32_e32 v12, v18, v20
	;; [unrolled: 1-line block ×12, first 2 shown]
	v_fma_f32 v8, v18, v19, -v8
	v_fmac_f32_e32 v12, v15, v19
	v_fma_f32 v9, v9, v21, -v20
	v_fma_f32 v15, v17, v29, -v42
	;; [unrolled: 1-line block ×3, first 2 shown]
	v_fmac_f32_e32 v22, v31, v21
	v_fma_f32 v10, v10, v23, -v39
	v_fmac_f32_e32 v24, v32, v23
	v_fma_f32 v6, v6, v25, -v40
	v_fmac_f32_e32 v30, v38, v29
	v_fmac_f32_e32 v26, v33, v25
	;; [unrolled: 1-line block ×3, first 2 shown]
	v_add_f32_e32 v17, v8, v15
	v_sub_f32_e32 v8, v8, v15
	v_add_f32_e32 v15, v9, v7
	v_add_f32_e32 v18, v12, v30
	v_sub_f32_e32 v12, v12, v30
	v_add_f32_e32 v19, v22, v28
	v_sub_f32_e32 v7, v9, v7
	v_sub_f32_e32 v9, v22, v28
	v_add_f32_e32 v20, v10, v6
	v_add_f32_e32 v21, v24, v26
	v_sub_f32_e32 v6, v6, v10
	v_sub_f32_e32 v10, v26, v24
	v_add_f32_e32 v22, v15, v17
	v_add_f32_e32 v23, v19, v18
	v_sub_f32_e32 v24, v15, v17
	v_sub_f32_e32 v25, v19, v18
	;; [unrolled: 1-line block ×6, first 2 shown]
	v_add_f32_e32 v26, v6, v7
	v_add_f32_e32 v27, v10, v9
	v_sub_f32_e32 v28, v6, v7
	v_sub_f32_e32 v29, v10, v9
	;; [unrolled: 1-line block ×3, first 2 shown]
	v_add_f32_e32 v20, v20, v22
	v_sub_f32_e32 v6, v8, v6
	v_sub_f32_e32 v10, v12, v10
	;; [unrolled: 1-line block ×3, first 2 shown]
	v_add_f32_e32 v21, v21, v23
	v_add_f32_e32 v22, v26, v8
	;; [unrolled: 1-line block ×3, first 2 shown]
	v_mul_f32_e32 v12, 0x3f4a47b2, v17
	v_mul_f32_e32 v17, 0x3f4a47b2, v18
	;; [unrolled: 1-line block ×7, first 2 shown]
	v_add_f32_e32 v16, v16, v20
	v_mul_f32_e32 v28, 0x3f5ff5aa, v7
	v_fmamk_f32 v15, v15, 0x3d64c772, v12
	v_fmamk_f32 v19, v19, 0x3d64c772, v17
	v_fma_f32 v18, 0x3f3bfb3b, v24, -v18
	v_fma_f32 v23, 0x3f3bfb3b, v25, -v23
	;; [unrolled: 1-line block ×4, first 2 shown]
	v_fmamk_f32 v24, v6, 0x3eae86e6, v26
	v_fmamk_f32 v25, v10, 0x3eae86e6, v27
	v_fma_f32 v26, 0x3f5ff5aa, v7, -v26
	v_fma_f32 v7, 0x3f5ff5aa, v9, -v27
	;; [unrolled: 1-line block ×3, first 2 shown]
	v_fmamk_f32 v10, v20, 0xbf955555, v16
	v_add_f32_e32 v30, v35, v21
	v_fmac_f32_e32 v25, 0x3ee1c552, v8
	v_fmac_f32_e32 v7, 0x3ee1c552, v8
	;; [unrolled: 1-line block ×3, first 2 shown]
	v_add_f32_e32 v8, v15, v10
	v_fmamk_f32 v20, v21, 0xbf955555, v30
	v_add_f32_e32 v12, v12, v10
	v_add_f32_e32 v10, v18, v10
	v_fma_f32 v6, 0xbeae86e6, v6, -v28
	v_add_f32_e32 v15, v25, v8
	v_add_f32_e32 v18, v19, v20
	;; [unrolled: 1-line block ×4, first 2 shown]
	v_sub_f32_e32 v23, v10, v7
	v_add_f32_e32 v7, v7, v10
	v_sub_f32_e32 v9, v12, v9
	v_sub_f32_e32 v8, v8, v25
	ds_write2_b32 v37, v16, v15 offset1:25
	ds_write2_b32 v37, v21, v23 offset0:50 offset1:75
	ds_write2_b32 v37, v7, v9 offset0:100 offset1:125
	ds_write_b32 v37, v8 offset:600
	s_waitcnt lgkmcnt(0)
	s_barrier
	buffer_gl0_inv
	ds_read_b32 v15, v0 offset:4200
	ds_read_b32 v12, v0
	ds_read_b32 v16, v11 offset:700
	ds_read2_b32 v[7:8], v13 offset0:30 offset1:205
	ds_read2_b32 v[9:10], v14 offset0:60 offset1:235
	v_fmac_f32_e32 v24, 0x3ee1c552, v22
	v_fmac_f32_e32 v6, 0x3ee1c552, v22
	v_add_f32_e32 v17, v17, v20
	v_fmac_f32_e32 v26, 0x3ee1c552, v22
	s_waitcnt lgkmcnt(0)
	v_sub_f32_e32 v13, v18, v24
	s_barrier
	v_sub_f32_e32 v14, v17, v6
	v_add_f32_e32 v20, v26, v19
	v_sub_f32_e32 v19, v19, v26
	v_add_f32_e32 v6, v6, v17
	v_add_f32_e32 v17, v24, v18
	buffer_gl0_inv
	ds_write2_b32 v37, v30, v13 offset1:25
	ds_write2_b32 v37, v14, v20 offset0:50 offset1:75
	ds_write2_b32 v37, v19, v6 offset0:100 offset1:125
	ds_write_b32 v37, v17 offset:600
	s_waitcnt lgkmcnt(0)
	s_barrier
	buffer_gl0_inv
	s_and_saveexec_b32 s0, vcc_lo
	s_cbranch_execz .LBB0_29
; %bb.28:
	v_mul_u32_u24_e32 v6, 6, v36
	v_mul_lo_u32 v13, s2, v4
	v_add_nc_u32_e32 v14, 0x500, v0
	v_lshlrev_b32_e32 v6, 3, v6
	s_clause 0x2
	global_load_dwordx4 v[17:20], v6, s[12:13] offset:1360
	global_load_dwordx4 v[21:24], v6, s[12:13] offset:1392
	;; [unrolled: 1-line block ×3, first 2 shown]
	v_mul_lo_u32 v6, s3, v3
	v_mad_u64_u32 v[3:4], null, s2, v3, 0
	ds_read_b32 v11, v11 offset:700
	ds_read_b32 v35, v0 offset:4200
	ds_read_b32 v36, v0
	v_add3_u32 v4, v4, v13, v6
	v_add_nc_u32_e32 v13, 0xa00, v0
	v_mov_b32_e32 v6, 0
	v_lshlrev_b64 v[0:1], 3, v[1:2]
	v_lshlrev_b64 v[3:4], 3, v[3:4]
	v_add_co_u32 v29, vcc_lo, s10, v3
	v_add_co_ci_u32_e32 v4, vcc_lo, s11, v4, vcc_lo
	v_lshlrev_b64 v[2:3], 3, v[5:6]
	v_add_co_u32 v5, vcc_lo, v29, v0
	v_add_co_ci_u32_e32 v4, vcc_lo, v4, v1, vcc_lo
	ds_read2_b32 v[0:1], v13 offset0:60 offset1:235
	v_add_co_u32 v2, vcc_lo, v5, v2
	v_add_co_ci_u32_e32 v3, vcc_lo, v4, v3, vcc_lo
	ds_read2_b32 v[4:5], v14 offset0:30 offset1:205
	v_add_co_u32 v13, vcc_lo, 0x800, v2
	v_add_co_ci_u32_e32 v14, vcc_lo, 0, v3, vcc_lo
	v_add_co_u32 v29, vcc_lo, 0x1000, v2
	v_add_co_ci_u32_e32 v30, vcc_lo, 0, v3, vcc_lo
	;; [unrolled: 2-line block ×4, first 2 shown]
	s_waitcnt vmcnt(2) lgkmcnt(4)
	v_mul_f32_e32 v6, v11, v18
	s_waitcnt vmcnt(1) lgkmcnt(3)
	v_mul_f32_e32 v37, v35, v24
	s_waitcnt lgkmcnt(0)
	v_mul_f32_e32 v40, v4, v20
	v_mul_f32_e32 v41, v1, v22
	;; [unrolled: 1-line block ×6, first 2 shown]
	s_waitcnt vmcnt(0)
	v_mul_f32_e32 v38, v0, v28
	v_mul_f32_e32 v39, v5, v26
	;; [unrolled: 1-line block ×4, first 2 shown]
	v_fma_f32 v6, v16, v17, -v6
	v_fma_f32 v15, v15, v23, -v37
	;; [unrolled: 1-line block ×4, first 2 shown]
	v_fmac_f32_e32 v24, v23, v35
	v_fmac_f32_e32 v18, v17, v11
	;; [unrolled: 1-line block ×4, first 2 shown]
	v_fma_f32 v9, v9, v27, -v38
	v_fma_f32 v8, v8, v25, -v39
	v_fmac_f32_e32 v26, v25, v5
	v_fmac_f32_e32 v28, v27, v0
	v_sub_f32_e32 v0, v6, v15
	v_sub_f32_e32 v4, v7, v10
	v_add_f32_e32 v5, v18, v24
	v_add_f32_e32 v16, v20, v22
	;; [unrolled: 1-line block ×4, first 2 shown]
	v_sub_f32_e32 v1, v9, v8
	v_add_f32_e32 v11, v28, v26
	v_add_f32_e32 v8, v9, v8
	v_sub_f32_e32 v9, v18, v24
	v_sub_f32_e32 v10, v28, v26
	v_sub_f32_e32 v15, v20, v22
	v_add_f32_e32 v21, v5, v16
	v_add_f32_e32 v24, v6, v7
	v_sub_f32_e32 v17, v0, v1
	v_sub_f32_e32 v18, v1, v4
	v_add_f32_e32 v1, v1, v4
	v_sub_f32_e32 v19, v5, v11
	v_sub_f32_e32 v20, v11, v16
	;; [unrolled: 1-line block ×6, first 2 shown]
	v_add_f32_e32 v10, v10, v15
	v_sub_f32_e32 v4, v4, v0
	v_add_f32_e32 v11, v11, v21
	v_add_f32_e32 v8, v8, v24
	v_sub_f32_e32 v6, v7, v6
	v_sub_f32_e32 v7, v15, v9
	;; [unrolled: 1-line block ×3, first 2 shown]
	v_mul_f32_e32 v15, 0xbf08b237, v18
	v_add_f32_e32 v16, v0, v1
	v_mul_f32_e32 v18, 0x3f4a47b2, v19
	v_mul_f32_e32 v20, 0x3d64c772, v20
	;; [unrolled: 1-line block ×4, first 2 shown]
	v_add_f32_e32 v9, v9, v10
	v_mul_f32_e32 v10, 0x3f5ff5aa, v4
	v_add_f32_e32 v1, v36, v11
	v_add_f32_e32 v0, v12, v8
	v_mul_f32_e32 v21, 0x3f4a47b2, v22
	v_mul_f32_e32 v26, 0x3f5ff5aa, v7
	v_fmamk_f32 v27, v17, 0x3eae86e6, v15
	v_fmamk_f32 v19, v19, 0x3f4a47b2, v20
	v_fmamk_f32 v22, v22, 0x3f4a47b2, v23
	v_fmamk_f32 v12, v25, 0x3eae86e6, v24
	v_fma_f32 v10, 0xbeae86e6, v17, -v10
	v_fma_f32 v17, 0xbf3bfb3b, v5, -v18
	;; [unrolled: 1-line block ×4, first 2 shown]
	v_fmamk_f32 v7, v11, 0xbf955555, v1
	v_fmamk_f32 v8, v8, 0xbf955555, v0
	v_fma_f32 v18, 0xbf3bfb3b, v6, -v21
	v_fma_f32 v21, 0xbeae86e6, v25, -v26
	;; [unrolled: 1-line block ×4, first 2 shown]
	v_fmac_f32_e32 v27, 0x3ee1c552, v16
	v_fmac_f32_e32 v12, 0x3ee1c552, v9
	v_add_f32_e32 v15, v19, v7
	v_add_f32_e32 v19, v22, v8
	v_fmac_f32_e32 v10, 0x3ee1c552, v16
	v_fmac_f32_e32 v21, 0x3ee1c552, v9
	v_add_f32_e32 v11, v17, v7
	v_add_f32_e32 v17, v18, v8
	;; [unrolled: 4-line block ×3, first 2 shown]
	global_store_dwordx2 v[2:3], v[0:1], off
	v_add_f32_e32 v1, v27, v15
	v_sub_f32_e32 v16, v15, v27
	v_add_f32_e32 v15, v12, v19
	v_add_f32_e32 v5, v10, v11
	v_sub_f32_e32 v11, v11, v10
	v_add_f32_e32 v10, v21, v17
	v_sub_f32_e32 v7, v9, v4
	;; [unrolled: 2-line block ×4, first 2 shown]
	v_sub_f32_e32 v0, v19, v12
	global_store_dwordx2 v[2:3], v[15:16], off offset:1400
	global_store_dwordx2 v[13:14], v[10:11], off offset:752
	;; [unrolled: 1-line block ×6, first 2 shown]
.LBB0_29:
	s_endpgm
	.section	.rodata,"a",@progbits
	.p2align	6, 0x0
	.amdhsa_kernel fft_rtc_fwd_len1225_factors_5_5_7_7_wgs_175_tpt_175_halfLds_sp_op_CI_CI_unitstride_sbrr_dirReg
		.amdhsa_group_segment_fixed_size 0
		.amdhsa_private_segment_fixed_size 0
		.amdhsa_kernarg_size 104
		.amdhsa_user_sgpr_count 6
		.amdhsa_user_sgpr_private_segment_buffer 1
		.amdhsa_user_sgpr_dispatch_ptr 0
		.amdhsa_user_sgpr_queue_ptr 0
		.amdhsa_user_sgpr_kernarg_segment_ptr 1
		.amdhsa_user_sgpr_dispatch_id 0
		.amdhsa_user_sgpr_flat_scratch_init 0
		.amdhsa_user_sgpr_private_segment_size 0
		.amdhsa_wavefront_size32 1
		.amdhsa_uses_dynamic_stack 0
		.amdhsa_system_sgpr_private_segment_wavefront_offset 0
		.amdhsa_system_sgpr_workgroup_id_x 1
		.amdhsa_system_sgpr_workgroup_id_y 0
		.amdhsa_system_sgpr_workgroup_id_z 0
		.amdhsa_system_sgpr_workgroup_info 0
		.amdhsa_system_vgpr_workitem_id 0
		.amdhsa_next_free_vgpr 58
		.amdhsa_next_free_sgpr 27
		.amdhsa_reserve_vcc 1
		.amdhsa_reserve_flat_scratch 0
		.amdhsa_float_round_mode_32 0
		.amdhsa_float_round_mode_16_64 0
		.amdhsa_float_denorm_mode_32 3
		.amdhsa_float_denorm_mode_16_64 3
		.amdhsa_dx10_clamp 1
		.amdhsa_ieee_mode 1
		.amdhsa_fp16_overflow 0
		.amdhsa_workgroup_processor_mode 1
		.amdhsa_memory_ordered 1
		.amdhsa_forward_progress 0
		.amdhsa_shared_vgpr_count 0
		.amdhsa_exception_fp_ieee_invalid_op 0
		.amdhsa_exception_fp_denorm_src 0
		.amdhsa_exception_fp_ieee_div_zero 0
		.amdhsa_exception_fp_ieee_overflow 0
		.amdhsa_exception_fp_ieee_underflow 0
		.amdhsa_exception_fp_ieee_inexact 0
		.amdhsa_exception_int_div_zero 0
	.end_amdhsa_kernel
	.text
.Lfunc_end0:
	.size	fft_rtc_fwd_len1225_factors_5_5_7_7_wgs_175_tpt_175_halfLds_sp_op_CI_CI_unitstride_sbrr_dirReg, .Lfunc_end0-fft_rtc_fwd_len1225_factors_5_5_7_7_wgs_175_tpt_175_halfLds_sp_op_CI_CI_unitstride_sbrr_dirReg
                                        ; -- End function
	.section	.AMDGPU.csdata,"",@progbits
; Kernel info:
; codeLenInByte = 5780
; NumSgprs: 29
; NumVgprs: 58
; ScratchSize: 0
; MemoryBound: 0
; FloatMode: 240
; IeeeMode: 1
; LDSByteSize: 0 bytes/workgroup (compile time only)
; SGPRBlocks: 3
; VGPRBlocks: 7
; NumSGPRsForWavesPerEU: 29
; NumVGPRsForWavesPerEU: 58
; Occupancy: 15
; WaveLimiterHint : 1
; COMPUTE_PGM_RSRC2:SCRATCH_EN: 0
; COMPUTE_PGM_RSRC2:USER_SGPR: 6
; COMPUTE_PGM_RSRC2:TRAP_HANDLER: 0
; COMPUTE_PGM_RSRC2:TGID_X_EN: 1
; COMPUTE_PGM_RSRC2:TGID_Y_EN: 0
; COMPUTE_PGM_RSRC2:TGID_Z_EN: 0
; COMPUTE_PGM_RSRC2:TIDIG_COMP_CNT: 0
	.text
	.p2alignl 6, 3214868480
	.fill 48, 4, 3214868480
	.type	__hip_cuid_f4d5d8dbe81dbffe,@object ; @__hip_cuid_f4d5d8dbe81dbffe
	.section	.bss,"aw",@nobits
	.globl	__hip_cuid_f4d5d8dbe81dbffe
__hip_cuid_f4d5d8dbe81dbffe:
	.byte	0                               ; 0x0
	.size	__hip_cuid_f4d5d8dbe81dbffe, 1

	.ident	"AMD clang version 19.0.0git (https://github.com/RadeonOpenCompute/llvm-project roc-6.4.0 25133 c7fe45cf4b819c5991fe208aaa96edf142730f1d)"
	.section	".note.GNU-stack","",@progbits
	.addrsig
	.addrsig_sym __hip_cuid_f4d5d8dbe81dbffe
	.amdgpu_metadata
---
amdhsa.kernels:
  - .args:
      - .actual_access:  read_only
        .address_space:  global
        .offset:         0
        .size:           8
        .value_kind:     global_buffer
      - .offset:         8
        .size:           8
        .value_kind:     by_value
      - .actual_access:  read_only
        .address_space:  global
        .offset:         16
        .size:           8
        .value_kind:     global_buffer
      - .actual_access:  read_only
        .address_space:  global
        .offset:         24
        .size:           8
        .value_kind:     global_buffer
      - .actual_access:  read_only
        .address_space:  global
        .offset:         32
        .size:           8
        .value_kind:     global_buffer
      - .offset:         40
        .size:           8
        .value_kind:     by_value
      - .actual_access:  read_only
        .address_space:  global
        .offset:         48
        .size:           8
        .value_kind:     global_buffer
      - .actual_access:  read_only
        .address_space:  global
        .offset:         56
        .size:           8
        .value_kind:     global_buffer
      - .offset:         64
        .size:           4
        .value_kind:     by_value
      - .actual_access:  read_only
        .address_space:  global
        .offset:         72
        .size:           8
        .value_kind:     global_buffer
      - .actual_access:  read_only
        .address_space:  global
        .offset:         80
        .size:           8
        .value_kind:     global_buffer
      - .actual_access:  read_only
        .address_space:  global
        .offset:         88
        .size:           8
        .value_kind:     global_buffer
      - .actual_access:  write_only
        .address_space:  global
        .offset:         96
        .size:           8
        .value_kind:     global_buffer
    .group_segment_fixed_size: 0
    .kernarg_segment_align: 8
    .kernarg_segment_size: 104
    .language:       OpenCL C
    .language_version:
      - 2
      - 0
    .max_flat_workgroup_size: 175
    .name:           fft_rtc_fwd_len1225_factors_5_5_7_7_wgs_175_tpt_175_halfLds_sp_op_CI_CI_unitstride_sbrr_dirReg
    .private_segment_fixed_size: 0
    .sgpr_count:     29
    .sgpr_spill_count: 0
    .symbol:         fft_rtc_fwd_len1225_factors_5_5_7_7_wgs_175_tpt_175_halfLds_sp_op_CI_CI_unitstride_sbrr_dirReg.kd
    .uniform_work_group_size: 1
    .uses_dynamic_stack: false
    .vgpr_count:     58
    .vgpr_spill_count: 0
    .wavefront_size: 32
    .workgroup_processor_mode: 1
amdhsa.target:   amdgcn-amd-amdhsa--gfx1030
amdhsa.version:
  - 1
  - 2
...

	.end_amdgpu_metadata
